;; amdgpu-corpus repo=ROCm/rocFFT kind=compiled arch=gfx906 opt=O3
	.text
	.amdgcn_target "amdgcn-amd-amdhsa--gfx906"
	.amdhsa_code_object_version 6
	.protected	fft_rtc_fwd_len2002_factors_2_13_7_11_wgs_182_tpt_182_halfLds_sp_op_CI_CI_unitstride_sbrr_dirReg ; -- Begin function fft_rtc_fwd_len2002_factors_2_13_7_11_wgs_182_tpt_182_halfLds_sp_op_CI_CI_unitstride_sbrr_dirReg
	.globl	fft_rtc_fwd_len2002_factors_2_13_7_11_wgs_182_tpt_182_halfLds_sp_op_CI_CI_unitstride_sbrr_dirReg
	.p2align	8
	.type	fft_rtc_fwd_len2002_factors_2_13_7_11_wgs_182_tpt_182_halfLds_sp_op_CI_CI_unitstride_sbrr_dirReg,@function
fft_rtc_fwd_len2002_factors_2_13_7_11_wgs_182_tpt_182_halfLds_sp_op_CI_CI_unitstride_sbrr_dirReg: ; @fft_rtc_fwd_len2002_factors_2_13_7_11_wgs_182_tpt_182_halfLds_sp_op_CI_CI_unitstride_sbrr_dirReg
; %bb.0:
	s_load_dwordx4 s[8:11], s[4:5], 0x58
	s_load_dwordx4 s[12:15], s[4:5], 0x0
	;; [unrolled: 1-line block ×3, first 2 shown]
	v_mul_u32_u24_e32 v1, 0x169, v0
	v_mov_b32_e32 v3, 0
	v_mov_b32_e32 v6, 0
	s_waitcnt lgkmcnt(0)
	v_cmp_lt_u64_e64 s[0:1], s[14:15], 2
	v_add_u32_sdwa v8, s6, v1 dst_sel:DWORD dst_unused:UNUSED_PAD src0_sel:DWORD src1_sel:WORD_1
	v_mov_b32_e32 v9, v3
	s_and_b64 vcc, exec, s[0:1]
	v_mov_b32_e32 v7, 0
	s_cbranch_vccnz .LBB0_8
; %bb.1:
	s_load_dwordx2 s[0:1], s[4:5], 0x10
	s_add_u32 s2, s18, 8
	s_addc_u32 s3, s19, 0
	s_add_u32 s6, s16, 8
	s_addc_u32 s7, s17, 0
	v_mov_b32_e32 v6, 0
	s_waitcnt lgkmcnt(0)
	s_add_u32 s20, s0, 8
	v_mov_b32_e32 v7, 0
	v_mov_b32_e32 v1, v6
	s_addc_u32 s21, s1, 0
	s_mov_b64 s[22:23], 1
	v_mov_b32_e32 v2, v7
.LBB0_2:                                ; =>This Inner Loop Header: Depth=1
	s_load_dwordx2 s[24:25], s[20:21], 0x0
	s_waitcnt lgkmcnt(0)
	v_or_b32_e32 v4, s25, v9
	v_cmp_ne_u64_e32 vcc, 0, v[3:4]
                                        ; implicit-def: $vgpr4_vgpr5
	s_and_saveexec_b64 s[0:1], vcc
	s_xor_b64 s[26:27], exec, s[0:1]
	s_cbranch_execz .LBB0_4
; %bb.3:                                ;   in Loop: Header=BB0_2 Depth=1
	v_cvt_f32_u32_e32 v4, s24
	v_cvt_f32_u32_e32 v5, s25
	s_sub_u32 s0, 0, s24
	s_subb_u32 s1, 0, s25
	v_mac_f32_e32 v4, 0x4f800000, v5
	v_rcp_f32_e32 v4, v4
	v_mul_f32_e32 v4, 0x5f7ffffc, v4
	v_mul_f32_e32 v5, 0x2f800000, v4
	v_trunc_f32_e32 v5, v5
	v_mac_f32_e32 v4, 0xcf800000, v5
	v_cvt_u32_f32_e32 v5, v5
	v_cvt_u32_f32_e32 v4, v4
	v_mul_lo_u32 v10, s0, v5
	v_mul_hi_u32 v11, s0, v4
	v_mul_lo_u32 v13, s1, v4
	v_mul_lo_u32 v12, s0, v4
	v_add_u32_e32 v10, v11, v10
	v_add_u32_e32 v10, v10, v13
	v_mul_hi_u32 v11, v4, v12
	v_mul_lo_u32 v13, v4, v10
	v_mul_hi_u32 v15, v4, v10
	v_mul_hi_u32 v14, v5, v12
	v_mul_lo_u32 v12, v5, v12
	v_mul_hi_u32 v16, v5, v10
	v_add_co_u32_e32 v11, vcc, v11, v13
	v_addc_co_u32_e32 v13, vcc, 0, v15, vcc
	v_mul_lo_u32 v10, v5, v10
	v_add_co_u32_e32 v11, vcc, v11, v12
	v_addc_co_u32_e32 v11, vcc, v13, v14, vcc
	v_addc_co_u32_e32 v12, vcc, 0, v16, vcc
	v_add_co_u32_e32 v10, vcc, v11, v10
	v_addc_co_u32_e32 v11, vcc, 0, v12, vcc
	v_add_co_u32_e32 v4, vcc, v4, v10
	v_addc_co_u32_e32 v5, vcc, v5, v11, vcc
	v_mul_lo_u32 v10, s0, v5
	v_mul_hi_u32 v11, s0, v4
	v_mul_lo_u32 v12, s1, v4
	v_mul_lo_u32 v13, s0, v4
	v_add_u32_e32 v10, v11, v10
	v_add_u32_e32 v10, v10, v12
	v_mul_lo_u32 v14, v4, v10
	v_mul_hi_u32 v15, v4, v13
	v_mul_hi_u32 v16, v4, v10
	v_mul_hi_u32 v12, v5, v13
	v_mul_lo_u32 v13, v5, v13
	v_mul_hi_u32 v11, v5, v10
	v_add_co_u32_e32 v14, vcc, v15, v14
	v_addc_co_u32_e32 v15, vcc, 0, v16, vcc
	v_mul_lo_u32 v10, v5, v10
	v_add_co_u32_e32 v13, vcc, v14, v13
	v_addc_co_u32_e32 v12, vcc, v15, v12, vcc
	v_addc_co_u32_e32 v11, vcc, 0, v11, vcc
	v_add_co_u32_e32 v10, vcc, v12, v10
	v_addc_co_u32_e32 v11, vcc, 0, v11, vcc
	v_add_co_u32_e32 v10, vcc, v4, v10
	v_addc_co_u32_e32 v11, vcc, v5, v11, vcc
	v_mad_u64_u32 v[4:5], s[0:1], v8, v11, 0
	v_mul_hi_u32 v12, v8, v10
	v_add_co_u32_e32 v12, vcc, v12, v4
	v_addc_co_u32_e32 v13, vcc, 0, v5, vcc
	v_mad_u64_u32 v[4:5], s[0:1], v9, v10, 0
	v_mad_u64_u32 v[10:11], s[0:1], v9, v11, 0
	v_add_co_u32_e32 v4, vcc, v12, v4
	v_addc_co_u32_e32 v4, vcc, v13, v5, vcc
	v_addc_co_u32_e32 v5, vcc, 0, v11, vcc
	v_add_co_u32_e32 v10, vcc, v4, v10
	v_addc_co_u32_e32 v11, vcc, 0, v5, vcc
	v_mul_lo_u32 v12, s25, v10
	v_mul_lo_u32 v13, s24, v11
	v_mad_u64_u32 v[4:5], s[0:1], s24, v10, 0
	v_add3_u32 v5, v5, v13, v12
	v_sub_u32_e32 v12, v9, v5
	v_mov_b32_e32 v13, s25
	v_sub_co_u32_e32 v4, vcc, v8, v4
	v_subb_co_u32_e64 v12, s[0:1], v12, v13, vcc
	v_subrev_co_u32_e64 v13, s[0:1], s24, v4
	v_subbrev_co_u32_e64 v12, s[0:1], 0, v12, s[0:1]
	v_cmp_le_u32_e64 s[0:1], s25, v12
	v_cndmask_b32_e64 v14, 0, -1, s[0:1]
	v_cmp_le_u32_e64 s[0:1], s24, v13
	v_cndmask_b32_e64 v13, 0, -1, s[0:1]
	v_cmp_eq_u32_e64 s[0:1], s25, v12
	v_cndmask_b32_e64 v12, v14, v13, s[0:1]
	v_add_co_u32_e64 v13, s[0:1], 2, v10
	v_addc_co_u32_e64 v14, s[0:1], 0, v11, s[0:1]
	v_add_co_u32_e64 v15, s[0:1], 1, v10
	v_addc_co_u32_e64 v16, s[0:1], 0, v11, s[0:1]
	v_subb_co_u32_e32 v5, vcc, v9, v5, vcc
	v_cmp_ne_u32_e64 s[0:1], 0, v12
	v_cmp_le_u32_e32 vcc, s25, v5
	v_cndmask_b32_e64 v12, v16, v14, s[0:1]
	v_cndmask_b32_e64 v14, 0, -1, vcc
	v_cmp_le_u32_e32 vcc, s24, v4
	v_cndmask_b32_e64 v4, 0, -1, vcc
	v_cmp_eq_u32_e32 vcc, s25, v5
	v_cndmask_b32_e32 v4, v14, v4, vcc
	v_cmp_ne_u32_e32 vcc, 0, v4
	v_cndmask_b32_e64 v4, v15, v13, s[0:1]
	v_cndmask_b32_e32 v5, v11, v12, vcc
	v_cndmask_b32_e32 v4, v10, v4, vcc
.LBB0_4:                                ;   in Loop: Header=BB0_2 Depth=1
	s_andn2_saveexec_b64 s[0:1], s[26:27]
	s_cbranch_execz .LBB0_6
; %bb.5:                                ;   in Loop: Header=BB0_2 Depth=1
	v_cvt_f32_u32_e32 v4, s24
	s_sub_i32 s26, 0, s24
	v_rcp_iflag_f32_e32 v4, v4
	v_mul_f32_e32 v4, 0x4f7ffffe, v4
	v_cvt_u32_f32_e32 v4, v4
	v_mul_lo_u32 v5, s26, v4
	v_mul_hi_u32 v5, v4, v5
	v_add_u32_e32 v4, v4, v5
	v_mul_hi_u32 v4, v8, v4
	v_mul_lo_u32 v5, v4, s24
	v_add_u32_e32 v10, 1, v4
	v_sub_u32_e32 v5, v8, v5
	v_subrev_u32_e32 v11, s24, v5
	v_cmp_le_u32_e32 vcc, s24, v5
	v_cndmask_b32_e32 v5, v5, v11, vcc
	v_cndmask_b32_e32 v4, v4, v10, vcc
	v_add_u32_e32 v10, 1, v4
	v_cmp_le_u32_e32 vcc, s24, v5
	v_cndmask_b32_e32 v4, v4, v10, vcc
	v_mov_b32_e32 v5, v3
.LBB0_6:                                ;   in Loop: Header=BB0_2 Depth=1
	s_or_b64 exec, exec, s[0:1]
	v_mul_lo_u32 v12, v5, s24
	v_mul_lo_u32 v13, v4, s25
	v_mad_u64_u32 v[10:11], s[0:1], v4, s24, 0
	s_load_dwordx2 s[0:1], s[6:7], 0x0
	s_load_dwordx2 s[24:25], s[2:3], 0x0
	v_add3_u32 v11, v11, v13, v12
	v_sub_co_u32_e32 v8, vcc, v8, v10
	v_subb_co_u32_e32 v9, vcc, v9, v11, vcc
	s_waitcnt lgkmcnt(0)
	v_mul_lo_u32 v10, s0, v9
	v_mul_lo_u32 v11, s1, v8
	v_mad_u64_u32 v[6:7], s[0:1], s0, v8, v[6:7]
	v_mul_lo_u32 v9, s24, v9
	v_mul_lo_u32 v12, s25, v8
	v_mad_u64_u32 v[1:2], s[0:1], s24, v8, v[1:2]
	s_add_u32 s22, s22, 1
	s_addc_u32 s23, s23, 0
	s_add_u32 s2, s2, 8
	v_add3_u32 v2, v12, v2, v9
	s_addc_u32 s3, s3, 0
	v_mov_b32_e32 v8, s14
	s_add_u32 s6, s6, 8
	v_mov_b32_e32 v9, s15
	s_addc_u32 s7, s7, 0
	v_cmp_ge_u64_e32 vcc, s[22:23], v[8:9]
	s_add_u32 s20, s20, 8
	v_add3_u32 v7, v11, v7, v10
	s_addc_u32 s21, s21, 0
	s_cbranch_vccnz .LBB0_9
; %bb.7:                                ;   in Loop: Header=BB0_2 Depth=1
	v_mov_b32_e32 v9, v5
	v_mov_b32_e32 v8, v4
	s_branch .LBB0_2
.LBB0_8:
	v_mov_b32_e32 v1, v6
	v_mov_b32_e32 v4, v8
	;; [unrolled: 1-line block ×4, first 2 shown]
.LBB0_9:
	s_load_dwordx2 s[2:3], s[4:5], 0x28
	s_lshl_b64 s[6:7], s[14:15], 3
	s_add_u32 s4, s18, s6
	s_addc_u32 s5, s19, s7
                                        ; implicit-def: $sgpr15
                                        ; implicit-def: $sgpr14
                                        ; implicit-def: $vgpr43
	s_waitcnt lgkmcnt(0)
	v_cmp_gt_u64_e64 s[0:1], s[2:3], v[4:5]
	v_cmp_le_u64_e32 vcc, s[2:3], v[4:5]
	s_and_saveexec_b64 s[2:3], vcc
	s_xor_b64 s[2:3], exec, s[2:3]
; %bb.10:
	s_mov_b32 s14, 0x1681682
	v_mul_hi_u32 v3, v0, s14
	s_mov_b32 s14, 0
	s_mov_b32 s15, 0
                                        ; implicit-def: $vgpr6_vgpr7
	v_mul_u32_u24_e32 v3, 0xb6, v3
	v_sub_u32_e32 v43, v0, v3
                                        ; implicit-def: $vgpr0
; %bb.11:
	s_or_saveexec_b64 s[2:3], s[2:3]
	s_load_dwordx2 s[4:5], s[4:5], 0x0
	v_mov_b32_e32 v38, s14
	v_mov_b32_e32 v3, s15
	;; [unrolled: 1-line block ×3, first 2 shown]
                                        ; implicit-def: $vgpr26
                                        ; implicit-def: $vgpr22
                                        ; implicit-def: $vgpr30
                                        ; implicit-def: $vgpr24
                                        ; implicit-def: $vgpr32
                                        ; implicit-def: $vgpr20
                                        ; implicit-def: $vgpr34
                                        ; implicit-def: $vgpr28
                                        ; implicit-def: $vgpr36
                                        ; implicit-def: $vgpr40
                                        ; implicit-def: $vgpr42
	s_xor_b64 exec, exec, s[2:3]
	s_cbranch_execz .LBB0_15
; %bb.12:
	s_add_u32 s6, s16, s6
	s_addc_u32 s7, s17, s7
	s_load_dwordx2 s[6:7], s[6:7], 0x0
	s_mov_b32 s14, 0x1681682
	v_mul_hi_u32 v3, v0, s14
	v_lshlrev_b64 v[6:7], 3, v[6:7]
	v_mov_b32_e32 v37, 0
	s_waitcnt lgkmcnt(0)
	v_mul_lo_u32 v10, s7, v4
	v_mul_lo_u32 v11, s6, v5
	v_mad_u64_u32 v[8:9], s[6:7], s6, v4, 0
	v_mul_u32_u24_e32 v3, 0xb6, v3
	v_sub_u32_e32 v43, v0, v3
	v_add3_u32 v9, v9, v11, v10
	v_lshlrev_b64 v[8:9], 3, v[8:9]
	v_mov_b32_e32 v0, s9
	v_add_co_u32_e32 v3, vcc, s8, v8
	v_addc_co_u32_e32 v0, vcc, v0, v9, vcc
	v_add_co_u32_e32 v3, vcc, v3, v6
	v_addc_co_u32_e32 v0, vcc, v0, v7, vcc
	v_lshlrev_b32_e32 v6, 3, v43
	v_add_co_u32_e32 v6, vcc, v3, v6
	v_addc_co_u32_e32 v7, vcc, 0, v0, vcc
	s_movk_i32 s6, 0x1000
	v_add_co_u32_e32 v8, vcc, s6, v6
	v_addc_co_u32_e32 v9, vcc, 0, v7, vcc
	s_movk_i32 s6, 0x2000
	v_add_co_u32_e32 v10, vcc, s6, v6
	v_addc_co_u32_e32 v11, vcc, 0, v7, vcc
	v_add_co_u32_e32 v12, vcc, 0x3000, v6
	global_load_dwordx2 v[19:20], v[10:11], off offset:2728
	v_addc_co_u32_e32 v13, vcc, 0, v7, vcc
	global_load_dwordx2 v[23:24], v[10:11], off offset:1272
	global_load_dwordx2 v[21:22], v[8:9], off offset:3912
	;; [unrolled: 1-line block ×5, first 2 shown]
	global_load_dwordx2 v[25:26], v[6:7], off
	global_load_dwordx2 v[29:30], v[6:7], off offset:1456
	global_load_dwordx2 v[33:34], v[8:9], off offset:272
	;; [unrolled: 1-line block ×3, first 2 shown]
	s_movk_i32 s6, 0x5b
	v_cmp_gt_u32_e32 vcc, s6, v43
	v_mov_b32_e32 v38, 0
                                        ; implicit-def: $vgpr41
	s_and_saveexec_b64 s[6:7], vcc
	s_cbranch_execz .LBB0_14
; %bb.13:
	v_add_co_u32_e32 v8, vcc, 0x1000, v6
	v_addc_co_u32_e32 v9, vcc, 0, v7, vcc
	v_add_co_u32_e32 v6, vcc, 0x3000, v6
	v_addc_co_u32_e32 v7, vcc, 0, v7, vcc
	global_load_dwordx2 v[37:38], v[8:9], off offset:3184
	global_load_dwordx2 v[41:42], v[6:7], off offset:3000
.LBB0_14:
	s_or_b64 exec, exec, s[6:7]
	v_mov_b32_e32 v3, v43
.LBB0_15:
	s_or_b64 exec, exec, s[2:3]
	s_waitcnt vmcnt(0)
	v_sub_f32_e32 v11, v31, v19
	v_sub_f32_e32 v13, v33, v27
	v_lshl_add_u32 v0, v43, 3, 0
	v_fma_f32 v10, v31, 2.0, -v11
	v_fma_f32 v12, v33, 2.0, -v13
	v_add_u32_e32 v6, 0xa00, v0
	ds_write2_b64 v6, v[10:11], v[12:13] offset0:44 offset1:226
	v_sub_f32_e32 v9, v25, v21
	v_sub_f32_e32 v15, v29, v23
	;; [unrolled: 1-line block ×4, first 2 shown]
	v_add_u32_e32 v31, 0xb6, v43
	s_movk_i32 s2, 0x5b
	v_add_u32_e32 v6, 0x38e, v43
	v_fma_f32 v8, v25, 2.0, -v9
	v_fma_f32 v14, v29, 2.0, -v15
	;; [unrolled: 1-line block ×4, first 2 shown]
	v_lshl_add_u32 v35, v31, 3, 0
	v_cmp_gt_u32_e64 s[2:3], s2, v43
	v_lshl_add_u32 v33, v6, 3, 0
	ds_write_b64 v0, v[8:9]
	ds_write_b64 v35, v[14:15]
	ds_write_b64 v0, v[16:17] offset:5824
	s_and_saveexec_b64 s[6:7], s[2:3]
	s_cbranch_execz .LBB0_17
; %bb.16:
	ds_write_b64 v33, v[18:19]
.LBB0_17:
	s_or_b64 exec, exec, s[6:7]
	s_movk_i32 s6, 0x9a
	v_add_u32_e32 v41, 0xb60, v0
	v_add_u32_e32 v39, 0x1110, v0
	;; [unrolled: 1-line block ×3, first 2 shown]
	v_cmp_gt_u32_e32 vcc, s6, v43
	s_waitcnt lgkmcnt(0)
	s_barrier
	s_waitcnt lgkmcnt(0)
                                        ; implicit-def: $vgpr49
	s_and_saveexec_b64 s[6:7], vcc
	s_cbranch_execz .LBB0_19
; %bb.18:
	v_lshlrev_b32_e32 v6, 2, v43
	v_sub_u32_e32 v6, v0, v6
	v_add_u32_e32 v7, 0x400, v6
	ds_read2_b32 v[14:15], v7 offset0:52 offset1:206
	v_add_u32_e32 v7, 0x900, v6
	ds_read2_b32 v[10:11], v7 offset0:40 offset1:194
	;; [unrolled: 2-line block ×4, first 2 shown]
	v_add_u32_e32 v7, 0x1800, v6
	ds_read2_b32 v[8:9], v6 offset1:154
	ds_read2_b32 v[18:19], v7 offset0:4 offset1:158
	ds_read_b32 v49, v6 offset:7392
.LBB0_19:
	s_or_b64 exec, exec, s[6:7]
	v_sub_f32_e32 v7, v26, v22
	v_sub_f32_e32 v22, v30, v24
	v_fma_f32 v6, v26, 2.0, -v7
	v_fma_f32 v21, v30, 2.0, -v22
	v_sub_f32_e32 v24, v32, v20
	v_sub_f32_e32 v26, v34, v28
	;; [unrolled: 1-line block ×4, first 2 shown]
	v_fma_f32 v23, v32, 2.0, -v24
	v_fma_f32 v25, v34, 2.0, -v26
	;; [unrolled: 1-line block ×4, first 2 shown]
	s_waitcnt lgkmcnt(0)
	s_barrier
	ds_write_b64 v0, v[6:7]
	ds_write_b64 v35, v[21:22]
	ds_write_b64 v41, v[23:24]
	ds_write_b64 v39, v[25:26]
	ds_write_b64 v37, v[27:28]
	s_and_saveexec_b64 s[6:7], s[2:3]
	s_cbranch_execz .LBB0_21
; %bb.20:
	ds_write_b64 v33, v[29:30]
.LBB0_21:
	s_or_b64 exec, exec, s[6:7]
	v_lshl_add_u32 v0, v43, 2, 0
	s_waitcnt lgkmcnt(0)
	s_barrier
	s_waitcnt lgkmcnt(0)
                                        ; implicit-def: $vgpr50
	s_and_saveexec_b64 s[2:3], vcc
	s_cbranch_execz .LBB0_23
; %bb.22:
	v_add_u32_e32 v20, 0x400, v0
	ds_read2_b32 v[21:22], v20 offset0:52 offset1:206
	v_add_u32_e32 v20, 0x900, v0
	ds_read2_b32 v[23:24], v20 offset0:40 offset1:194
	;; [unrolled: 2-line block ×4, first 2 shown]
	v_add_u32_e32 v20, 0x1800, v0
	ds_read2_b32 v[6:7], v0 offset1:154
	ds_read2_b32 v[29:30], v20 offset0:4 offset1:158
	ds_read_b32 v50, v0 offset:7392
.LBB0_23:
	s_or_b64 exec, exec, s[2:3]
	v_and_b32_e32 v20, 1, v43
	v_mul_u32_u24_e32 v32, 12, v20
	v_lshlrev_b32_e32 v32, 3, v32
	global_load_dwordx4 v[51:54], v32, s[12:13]
	global_load_dwordx4 v[55:58], v32, s[12:13] offset:16
	global_load_dwordx4 v[59:62], v32, s[12:13] offset:32
	;; [unrolled: 1-line block ×5, first 2 shown]
	s_waitcnt vmcnt(0) lgkmcnt(0)
	s_barrier
	v_mul_f32_e32 v32, v9, v52
	v_mul_f32_e32 v33, v14, v54
	v_fmac_f32_e32 v32, v7, v51
	v_mul_f32_e32 v45, v7, v52
	v_mul_f32_e32 v46, v21, v54
	;; [unrolled: 1-line block ×4, first 2 shown]
	v_fmac_f32_e32 v44, v50, v73
	v_mul_f32_e32 v52, v22, v56
	v_mul_f32_e32 v34, v15, v56
	;; [unrolled: 1-line block ×18, first 2 shown]
	v_fmac_f32_e32 v33, v21, v53
	v_fmac_f32_e32 v42, v30, v71
	v_sub_f32_e32 v7, v32, v44
	v_fma_f32 v48, v9, v51, -v45
	v_fmac_f32_e32 v35, v23, v57
	v_fmac_f32_e32 v38, v26, v63
	v_fma_f32 v26, v17, v67, -v64
	v_fmac_f32_e32 v41, v29, v69
	v_fma_f32 v29, v19, v71, -v68
	v_fma_f32 v30, v49, v73, -v70
	v_sub_f32_e32 v9, v33, v42
	v_mul_f32_e32 v17, 0xbeedf032, v7
	v_mul_f32_e32 v19, 0xbf52af12, v7
	;; [unrolled: 1-line block ×3, first 2 shown]
	v_fma_f32 v47, v14, v53, -v46
	v_fmac_f32_e32 v34, v22, v55
	v_fma_f32 v45, v10, v57, -v54
	v_fmac_f32_e32 v36, v24, v59
	;; [unrolled: 2-line block ×3, first 2 shown]
	v_fmac_f32_e32 v40, v28, v67
	v_fma_f32 v27, v18, v69, -v66
	v_add_f32_e32 v50, v48, v30
	v_mul_f32_e32 v18, 0xbf52af12, v9
	v_mul_f32_e32 v22, 0xbf6f5d39, v9
	;; [unrolled: 1-line block ×3, first 2 shown]
	v_mov_b32_e32 v10, v17
	v_mov_b32_e32 v12, v19
	;; [unrolled: 1-line block ×3, first 2 shown]
	v_fma_f32 v46, v15, v55, -v52
	v_fma_f32 v21, v11, v59, -v56
	v_fmac_f32_e32 v37, v25, v61
	v_fma_f32 v15, v13, v63, -v60
	v_add_f32_e32 v53, v47, v29
	v_mov_b32_e32 v11, v18
	v_mov_b32_e32 v13, v22
	;; [unrolled: 1-line block ×3, first 2 shown]
	v_fmac_f32_e32 v10, 0x3f62ad3f, v50
	v_fmac_f32_e32 v12, 0x3f116cb1, v50
	;; [unrolled: 1-line block ×3, first 2 shown]
	v_mul_f32_e32 v61, 0xbe750f2a, v7
	v_fma_f32 v16, v16, v65, -v62
	v_mul_f32_e32 v25, 0xbf6f5d39, v7
	v_fmac_f32_e32 v11, 0x3f116cb1, v53
	v_fmac_f32_e32 v13, 0xbeb58ec6, v53
	;; [unrolled: 1-line block ×3, first 2 shown]
	v_add_f32_e32 v10, v8, v10
	v_add_f32_e32 v12, v8, v12
	;; [unrolled: 1-line block ×3, first 2 shown]
	v_mul_f32_e32 v56, 0xbf29c268, v7
	v_mov_b32_e32 v7, v61
	v_mul_f32_e32 v62, 0x3eedf032, v9
	v_mul_f32_e32 v49, 0x3f29c268, v9
	v_add_f32_e32 v10, v11, v10
	v_add_f32_e32 v11, v13, v12
	;; [unrolled: 1-line block ×3, first 2 shown]
	v_mov_b32_e32 v28, v56
	v_mul_f32_e32 v57, 0x3f7e222b, v9
	v_fmac_f32_e32 v7, 0xbf788fa5, v50
	v_mov_b32_e32 v9, v62
	v_mov_b32_e32 v52, v25
	v_fmac_f32_e32 v28, 0xbf3f9e67, v50
	v_mov_b32_e32 v51, v57
	v_add_f32_e32 v7, v8, v7
	v_fmac_f32_e32 v9, 0x3f62ad3f, v53
	v_mov_b32_e32 v54, v49
	v_fmac_f32_e32 v52, 0xbeb58ec6, v50
	v_add_f32_e32 v28, v8, v28
	v_fmac_f32_e32 v51, 0x3df6dbef, v53
	v_add_f32_e32 v7, v9, v7
	v_sub_f32_e32 v9, v34, v41
	v_add_f32_e32 v52, v8, v52
	v_fmac_f32_e32 v54, 0xbf3f9e67, v53
	v_add_f32_e32 v28, v51, v28
	v_mul_f32_e32 v51, 0xbf7e222b, v9
	v_add_f32_e32 v13, v54, v52
	v_add_f32_e32 v70, v46, v27
	v_mov_b32_e32 v52, v51
	v_fmac_f32_e32 v52, 0x3df6dbef, v70
	v_add_f32_e32 v10, v52, v10
	v_mul_f32_e32 v52, 0xbe750f2a, v9
	v_mov_b32_e32 v54, v52
	v_fmac_f32_e32 v54, 0xbf788fa5, v70
	v_mul_f32_e32 v55, 0x3f6f5d39, v9
	v_add_f32_e32 v11, v54, v11
	v_mov_b32_e32 v54, v55
	v_fmac_f32_e32 v54, 0xbeb58ec6, v70
	v_mul_f32_e32 v59, 0x3eedf032, v9
	v_add_f32_e32 v12, v54, v12
	v_mov_b32_e32 v54, v59
	v_mul_f32_e32 v68, 0xbf29c268, v9
	v_fmac_f32_e32 v54, 0x3f62ad3f, v70
	v_mul_f32_e32 v64, 0xbf52af12, v9
	v_mov_b32_e32 v9, v68
	v_add_f32_e32 v13, v54, v13
	v_mov_b32_e32 v54, v64
	v_fmac_f32_e32 v9, 0xbf3f9e67, v70
	v_fmac_f32_e32 v54, 0x3f116cb1, v70
	v_add_f32_e32 v7, v9, v7
	v_sub_f32_e32 v9, v35, v40
	v_add_f32_e32 v28, v54, v28
	v_mul_f32_e32 v54, 0xbf6f5d39, v9
	v_add_f32_e32 v74, v45, v26
	v_mov_b32_e32 v58, v54
	v_fmac_f32_e32 v58, 0xbeb58ec6, v74
	v_add_f32_e32 v10, v58, v10
	v_mul_f32_e32 v58, 0x3f29c268, v9
	v_mov_b32_e32 v60, v58
	v_fmac_f32_e32 v60, 0xbf3f9e67, v74
	v_mul_f32_e32 v63, 0x3eedf032, v9
	v_add_f32_e32 v11, v60, v11
	v_mov_b32_e32 v60, v63
	v_fmac_f32_e32 v60, 0x3f62ad3f, v74
	v_mul_f32_e32 v66, 0xbf7e222b, v9
	v_add_f32_e32 v12, v60, v12
	v_mov_b32_e32 v60, v66
	v_mul_f32_e32 v75, 0x3f52af12, v9
	v_fmac_f32_e32 v60, 0x3df6dbef, v74
	v_mul_f32_e32 v71, 0x3e750f2a, v9
	v_mov_b32_e32 v9, v75
	v_add_f32_e32 v13, v60, v13
	v_mov_b32_e32 v60, v71
	v_fmac_f32_e32 v9, 0x3f116cb1, v74
	v_fmac_f32_e32 v60, 0xbf788fa5, v74
	v_add_f32_e32 v7, v9, v7
	v_sub_f32_e32 v9, v36, v39
	v_add_f32_e32 v28, v60, v28
	v_mul_f32_e32 v60, 0xbf29c268, v9
	v_add_f32_e32 v79, v21, v16
	v_mov_b32_e32 v65, v60
	v_fmac_f32_e32 v65, 0xbf3f9e67, v79
	v_add_f32_e32 v10, v65, v10
	v_mul_f32_e32 v65, 0x3f7e222b, v9
	v_mov_b32_e32 v67, v65
	v_fmac_f32_e32 v67, 0x3df6dbef, v79
	v_mul_f32_e32 v69, 0xbf52af12, v9
	v_add_f32_e32 v11, v67, v11
	v_mov_b32_e32 v67, v69
	v_fmac_f32_e32 v67, 0x3f116cb1, v79
	v_mul_f32_e32 v73, 0x3e750f2a, v9
	v_add_f32_e32 v12, v67, v12
	;; [unrolled: 4-line block ×3, first 2 shown]
	v_mov_b32_e32 v67, v77
	v_mul_f32_e32 v80, 0xbf6f5d39, v9
	v_fmac_f32_e32 v67, 0x3f62ad3f, v79
	v_mov_b32_e32 v9, v80
	v_sub_f32_e32 v83, v37, v38
	v_add_f32_e32 v28, v67, v28
	v_fmac_f32_e32 v9, 0xbeb58ec6, v79
	v_mul_f32_e32 v67, 0xbe750f2a, v83
	v_add_f32_e32 v7, v9, v7
	v_add_f32_e32 v82, v14, v15
	v_mov_b32_e32 v9, v67
	v_fmac_f32_e32 v9, 0xbf788fa5, v82
	v_mul_f32_e32 v72, 0x3eedf032, v83
	v_add_f32_e32 v9, v9, v10
	v_mov_b32_e32 v10, v72
	v_fmac_f32_e32 v10, 0x3f62ad3f, v82
	v_mul_f32_e32 v76, 0xbf29c268, v83
	;; [unrolled: 4-line block ×5, first 2 shown]
	v_add_f32_e32 v13, v13, v28
	v_mov_b32_e32 v28, v83
	v_fmac_f32_e32 v28, 0x3df6dbef, v82
	v_add_f32_e32 v7, v28, v7
	v_lshrrev_b32_e32 v28, 1, v43
	s_and_saveexec_b64 s[2:3], vcc
	s_cbranch_execz .LBB0_25
; %bb.24:
	v_mul_f32_e32 v84, 0x3f62ad3f, v50
	v_mul_f32_e32 v85, 0x3f116cb1, v50
	;; [unrolled: 1-line block ×12, first 2 shown]
	v_sub_f32_e32 v50, v50, v61
	v_mul_f32_e32 v94, 0x3df6dbef, v70
	v_mul_f32_e32 v95, 0xbf788fa5, v70
	v_mul_f32_e32 v96, 0xbeb58ec6, v70
	v_mul_f32_e32 v97, 0x3f62ad3f, v70
	v_mul_f32_e32 v98, 0x3f116cb1, v70
	v_mul_f32_e32 v70, 0xbf3f9e67, v70
	v_add_f32_e32 v50, v8, v50
	v_sub_f32_e32 v53, v53, v62
	v_mul_f32_e32 v99, 0xbeb58ec6, v74
	v_mul_f32_e32 v100, 0xbf3f9e67, v74
	v_mul_f32_e32 v101, 0x3f62ad3f, v74
	v_mul_f32_e32 v102, 0x3df6dbef, v74
	v_mul_f32_e32 v103, 0xbf788fa5, v74
	v_mul_f32_e32 v74, 0x3f116cb1, v74
	v_add_f32_e32 v50, v53, v50
	;; [unrolled: 8-line block ×4, first 2 shown]
	v_sub_f32_e32 v53, v79, v80
	v_add_f32_e32 v50, v53, v50
	v_sub_f32_e32 v53, v82, v83
	v_add_f32_e32 v50, v53, v50
	v_sub_f32_e32 v53, v88, v56
	v_sub_f32_e32 v25, v87, v25
	;; [unrolled: 1-line block ×5, first 2 shown]
	v_add_f32_e32 v53, v8, v53
	v_add_f32_e32 v25, v8, v25
	;; [unrolled: 1-line block ×9, first 2 shown]
	v_sub_f32_e32 v18, v89, v18
	v_add_f32_e32 v8, v8, v21
	v_add_f32_e32 v17, v18, v17
	v_sub_f32_e32 v18, v94, v51
	v_add_f32_e32 v8, v8, v14
	v_add_f32_e32 v17, v18, v17
	v_sub_f32_e32 v18, v99, v54
	v_add_f32_e32 v8, v8, v15
	v_sub_f32_e32 v56, v93, v57
	v_sub_f32_e32 v49, v92, v49
	v_sub_f32_e32 v24, v91, v24
	v_sub_f32_e32 v22, v90, v22
	v_add_f32_e32 v17, v18, v17
	v_sub_f32_e32 v18, v104, v60
	v_add_f32_e32 v8, v8, v16
	v_add_f32_e32 v53, v56, v53
	v_sub_f32_e32 v56, v98, v64
	v_add_f32_e32 v25, v49, v25
	v_sub_f32_e32 v49, v97, v59
	v_add_f32_e32 v23, v24, v23
	v_sub_f32_e32 v24, v96, v55
	v_add_f32_e32 v19, v22, v19
	v_sub_f32_e32 v22, v95, v52
	v_add_f32_e32 v17, v18, v17
	v_sub_f32_e32 v18, v109, v67
	v_add_f32_e32 v8, v8, v26
	v_add_f32_e32 v53, v56, v53
	v_sub_f32_e32 v56, v103, v71
	v_add_f32_e32 v25, v49, v25
	v_sub_f32_e32 v49, v102, v66
	;; [unrolled: 2-line block ×4, first 2 shown]
	v_add_f32_e32 v17, v18, v17
	v_add_f32_e32 v8, v8, v27
	v_mul_u32_u24_e32 v18, 26, v28
	v_add_f32_e32 v53, v56, v53
	v_sub_f32_e32 v56, v108, v77
	v_add_f32_e32 v25, v49, v25
	v_sub_f32_e32 v49, v107, v73
	;; [unrolled: 2-line block ×4, first 2 shown]
	v_add_f32_e32 v8, v8, v29
	v_or_b32_e32 v18, v18, v20
	v_add_f32_e32 v53, v56, v53
	v_sub_f32_e32 v56, v113, v81
	v_add_f32_e32 v25, v49, v25
	v_sub_f32_e32 v49, v112, v78
	;; [unrolled: 2-line block ×4, first 2 shown]
	v_add_f32_e32 v8, v8, v30
	v_lshl_add_u32 v18, v18, 2, 0
	v_add_f32_e32 v53, v56, v53
	v_add_f32_e32 v25, v49, v25
	;; [unrolled: 1-line block ×4, first 2 shown]
	ds_write2_b32 v18, v8, v17 offset1:2
	ds_write2_b32 v18, v19, v23 offset0:4 offset1:6
	ds_write2_b32 v18, v25, v53 offset0:8 offset1:10
	;; [unrolled: 1-line block ×5, first 2 shown]
	ds_write_b32 v18, v9 offset:96
.LBB0_25:
	s_or_b64 exec, exec, s[2:3]
	s_waitcnt lgkmcnt(0)
	s_barrier
	ds_read_b32 v8, v0
	ds_read_b32 v25, v0 offset:1144
	ds_read_b32 v24, v0 offset:2288
	;; [unrolled: 1-line block ×6, first 2 shown]
	s_movk_i32 s2, 0x68
	v_cmp_gt_u32_e64 s[2:3], s2, v43
                                        ; implicit-def: $vgpr23
	s_and_saveexec_b64 s[6:7], s[2:3]
	s_cbranch_execz .LBB0_27
; %bb.26:
	ds_read_b32 v7, v0 offset:728
	ds_read_b32 v13, v0 offset:1872
	ds_read_b32 v12, v0 offset:3016
	ds_read_b32 v11, v0 offset:4160
	ds_read_b32 v10, v0 offset:5304
	ds_read_b32 v9, v0 offset:6448
	ds_read_b32 v23, v0 offset:7592
.LBB0_27:
	s_or_b64 exec, exec, s[6:7]
	v_sub_f32_e32 v52, v48, v30
	v_add_f32_e32 v71, v32, v44
	s_mov_b32 s6, 0x3f62ad3f
	v_mul_f32_e32 v30, 0xbeedf032, v52
	v_sub_f32_e32 v59, v47, v29
	v_fma_f32 v48, v71, s6, -v30
	s_mov_b32 s7, 0x3f116cb1
	v_add_f32_e32 v80, v33, v42
	v_mul_f32_e32 v29, 0xbf52af12, v59
	v_add_f32_e32 v53, v6, v48
	v_mul_f32_e32 v48, 0xbf52af12, v52
	v_fma_f32 v47, v80, s7, -v29
	v_fma_f32 v49, v71, s7, -v48
	s_mov_b32 s9, 0xbeb58ec6
	v_add_f32_e32 v60, v47, v53
	v_mul_f32_e32 v47, 0xbf6f5d39, v59
	v_add_f32_e32 v54, v6, v49
	s_mov_b32 s8, 0x3df6dbef
	v_mul_f32_e32 v49, 0xbf7e222b, v52
	v_fma_f32 v53, v80, s9, -v47
	v_fma_f32 v50, v71, s8, -v49
	s_mov_b32 s15, 0xbf788fa5
	v_add_f32_e32 v61, v53, v54
	v_mul_f32_e32 v53, 0xbe750f2a, v59
	v_add_f32_e32 v55, v6, v50
	v_mul_f32_e32 v50, 0xbf6f5d39, v52
	v_fma_f32 v54, v80, s15, -v53
	v_fma_f32 v51, v71, s9, -v50
	s_mov_b32 s14, 0xbf3f9e67
	v_add_f32_e32 v62, v54, v55
	v_mul_f32_e32 v54, 0x3f29c268, v59
	v_add_f32_e32 v56, v6, v51
	v_mul_f32_e32 v51, 0xbf29c268, v52
	v_fma_f32 v55, v80, s14, -v54
	v_fma_f32 v57, v71, s14, -v51
	v_add_f32_e32 v63, v55, v56
	v_mul_f32_e32 v55, 0x3f7e222b, v59
	v_add_f32_e32 v57, v6, v57
	v_mul_f32_e32 v52, 0xbe750f2a, v52
	v_fma_f32 v56, v80, s8, -v55
	v_fma_f32 v58, v71, s15, -v52
	v_add_f32_e32 v64, v56, v57
	v_mul_f32_e32 v56, 0x3eedf032, v59
	v_sub_f32_e32 v27, v46, v27
	v_add_f32_e32 v58, v6, v58
	v_fma_f32 v57, v80, s6, -v56
	v_add_f32_e32 v81, v34, v41
	v_mul_f32_e32 v46, 0xbf7e222b, v27
	v_add_f32_e32 v65, v57, v58
	v_fma_f32 v57, v81, s8, -v46
	v_add_f32_e32 v66, v57, v60
	v_mul_f32_e32 v57, 0xbe750f2a, v27
	v_fma_f32 v58, v81, s15, -v57
	v_add_f32_e32 v67, v58, v61
	v_mul_f32_e32 v58, 0x3f6f5d39, v27
	v_sub_f32_e32 v26, v45, v26
	v_fma_f32 v59, v81, s9, -v58
	v_add_f32_e32 v82, v35, v40
	v_mul_f32_e32 v45, 0xbf6f5d39, v26
	v_add_f32_e32 v68, v59, v62
	v_mul_f32_e32 v59, 0x3eedf032, v27
	v_fma_f32 v62, v82, s9, -v45
	v_fma_f32 v60, v81, s6, -v59
	v_add_f32_e32 v72, v62, v66
	v_mul_f32_e32 v62, 0x3f29c268, v26
	v_add_f32_e32 v69, v60, v63
	v_mul_f32_e32 v60, 0xbf52af12, v27
	v_fma_f32 v63, v82, s14, -v62
	;; [unrolled: 6-line block ×3, first 2 shown]
	v_fma_f32 v27, v81, s14, -v61
	v_add_f32_e32 v74, v64, v68
	v_mul_f32_e32 v64, 0xbf7e222b, v26
	v_add_f32_e32 v27, v27, v65
	v_fma_f32 v65, v82, s8, -v64
	v_add_f32_e32 v75, v65, v69
	v_mul_f32_e32 v65, 0x3e750f2a, v26
	v_sub_f32_e32 v16, v21, v16
	v_fma_f32 v66, v82, s15, -v65
	v_add_f32_e32 v83, v36, v39
	v_mul_f32_e32 v69, 0xbf52af12, v16
	v_add_f32_e32 v76, v66, v70
	v_mul_f32_e32 v67, 0xbf29c268, v16
	v_fma_f32 v70, v83, s7, -v69
	v_mul_f32_e32 v66, 0x3f52af12, v26
	v_fma_f32 v21, v83, s14, -v67
	v_add_f32_e32 v77, v70, v74
	v_mul_f32_e32 v70, 0x3e750f2a, v16
	v_fma_f32 v26, v82, s7, -v66
	v_add_f32_e32 v21, v21, v72
	;; [unrolled: 3-line block ×3, first 2 shown]
	v_fma_f32 v27, v83, s8, -v68
	v_add_f32_e32 v78, v72, v75
	v_mul_f32_e32 v72, 0x3eedf032, v16
	v_sub_f32_e32 v85, v14, v15
	v_add_f32_e32 v27, v27, v73
	v_fma_f32 v73, v83, s6, -v72
	v_add_f32_e32 v84, v37, v38
	v_mul_f32_e32 v74, 0xbe750f2a, v85
	v_add_f32_e32 v79, v73, v76
	v_fma_f32 v14, v84, s15, -v74
	v_mul_f32_e32 v76, 0xbf29c268, v85
	v_mul_f32_e32 v73, 0xbf6f5d39, v16
	v_add_f32_e32 v14, v14, v21
	v_fma_f32 v21, v84, s14, -v76
	v_fma_f32 v16, v83, s9, -v73
	v_add_f32_e32 v21, v21, v77
	v_mul_f32_e32 v77, 0x3f52af12, v85
	v_add_f32_e32 v16, v16, v26
	v_mul_f32_e32 v75, 0x3eedf032, v85
	v_fma_f32 v26, v84, s7, -v77
	v_fma_f32 v15, v84, s6, -v75
	v_add_f32_e32 v26, v26, v78
	v_mul_f32_e32 v78, 0xbf6f5d39, v85
	v_add_f32_e32 v15, v15, v27
	v_fma_f32 v27, v84, s9, -v78
	v_add_f32_e32 v27, v27, v79
	v_mul_f32_e32 v79, 0x3f7e222b, v85
	v_fma_f32 v85, v84, s8, -v79
	v_add_f32_e32 v16, v85, v16
	s_waitcnt lgkmcnt(0)
	s_barrier
	s_and_saveexec_b64 s[6:7], vcc
	s_cbranch_execz .LBB0_29
; %bb.28:
	v_mul_f32_e32 v85, 0x3f62ad3f, v71
	v_mul_f32_e32 v86, 0x3f116cb1, v71
	;; [unrolled: 1-line block ×3, first 2 shown]
	v_add_f32_e32 v32, v6, v32
	v_add_f32_e32 v30, v30, v85
	v_mul_f32_e32 v87, 0x3df6dbef, v71
	v_mul_f32_e32 v91, 0xbeb58ec6, v80
	v_add_f32_e32 v32, v32, v33
	v_add_f32_e32 v30, v6, v30
	v_add_f32_e32 v33, v48, v86
	v_add_f32_e32 v29, v29, v90
	v_mul_f32_e32 v88, 0xbeb58ec6, v71
	v_mul_f32_e32 v92, 0xbf788fa5, v80
	v_add_f32_e32 v32, v32, v34
	v_add_f32_e32 v33, v6, v33
	v_add_f32_e32 v34, v49, v87
	v_add_f32_e32 v29, v29, v30
	v_add_f32_e32 v30, v47, v91
	v_mul_f32_e32 v89, 0xbf3f9e67, v71
	v_mul_f32_e32 v93, 0xbf3f9e67, v80
	v_add_f32_e32 v32, v32, v35
	;; [unrolled: 7-line block ×3, first 2 shown]
	v_add_f32_e32 v35, v6, v35
	v_add_f32_e32 v36, v51, v89
	;; [unrolled: 1-line block ×4, first 2 shown]
	v_mul_f32_e32 v80, 0x3f62ad3f, v80
	v_add_f32_e32 v32, v32, v37
	v_add_f32_e32 v36, v6, v36
	;; [unrolled: 1-line block ×5, first 2 shown]
	v_mul_f32_e32 v95, 0x3df6dbef, v81
	v_add_f32_e32 v6, v6, v37
	v_add_f32_e32 v35, v35, v36
	;; [unrolled: 1-line block ×3, first 2 shown]
	v_mul_f32_e32 v96, 0xbf788fa5, v81
	v_add_f32_e32 v6, v36, v6
	v_add_f32_e32 v36, v46, v95
	v_mul_f32_e32 v97, 0xbeb58ec6, v81
	v_add_f32_e32 v29, v36, v29
	v_add_f32_e32 v36, v57, v96
	v_mul_f32_e32 v98, 0x3f62ad3f, v81
	v_add_f32_e32 v30, v36, v30
	v_add_f32_e32 v36, v58, v97
	v_mul_f32_e32 v99, 0x3f116cb1, v81
	v_add_f32_e32 v33, v36, v33
	v_add_f32_e32 v36, v59, v98
	v_mul_f32_e32 v81, 0xbf3f9e67, v81
	v_add_f32_e32 v34, v36, v34
	v_add_f32_e32 v36, v60, v99
	v_mul_f32_e32 v100, 0xbeb58ec6, v82
	v_add_f32_e32 v35, v36, v35
	v_add_f32_e32 v36, v61, v81
	v_mul_f32_e32 v101, 0xbf3f9e67, v82
	v_add_f32_e32 v6, v36, v6
	v_add_f32_e32 v36, v45, v100
	v_mul_f32_e32 v102, 0x3f62ad3f, v82
	v_add_f32_e32 v29, v36, v29
	v_add_f32_e32 v36, v62, v101
	v_mul_f32_e32 v103, 0x3df6dbef, v82
	v_add_f32_e32 v30, v36, v30
	v_add_f32_e32 v36, v63, v102
	v_mul_f32_e32 v104, 0xbf788fa5, v82
	v_add_f32_e32 v33, v36, v33
	v_add_f32_e32 v36, v64, v103
	v_mul_f32_e32 v82, 0x3f116cb1, v82
	v_add_f32_e32 v34, v36, v34
	v_add_f32_e32 v36, v65, v104
	v_mul_f32_e32 v105, 0xbf3f9e67, v83
	v_add_f32_e32 v35, v36, v35
	v_add_f32_e32 v36, v66, v82
	v_mul_f32_e32 v106, 0x3df6dbef, v83
	v_add_f32_e32 v6, v36, v6
	v_add_f32_e32 v36, v67, v105
	v_mul_f32_e32 v107, 0x3f116cb1, v83
	v_add_f32_e32 v29, v36, v29
	v_add_f32_e32 v36, v68, v106
	v_mul_f32_e32 v108, 0xbf788fa5, v83
	v_add_f32_e32 v30, v36, v30
	v_add_f32_e32 v36, v69, v107
	v_mul_f32_e32 v109, 0x3f62ad3f, v83
	v_add_f32_e32 v33, v36, v33
	v_add_f32_e32 v36, v70, v108
	v_mul_f32_e32 v83, 0xbeb58ec6, v83
	v_add_f32_e32 v34, v36, v34
	v_add_f32_e32 v36, v72, v109
	v_mul_f32_e32 v110, 0xbf788fa5, v84
	v_add_f32_e32 v35, v36, v35
	v_add_f32_e32 v36, v73, v83
	v_mul_f32_e32 v111, 0x3f62ad3f, v84
	v_add_f32_e32 v32, v32, v38
	v_add_f32_e32 v6, v36, v6
	v_add_f32_e32 v36, v74, v110
	v_mul_f32_e32 v112, 0xbf3f9e67, v84
	v_add_f32_e32 v32, v32, v39
	v_add_f32_e32 v29, v36, v29
	v_add_f32_e32 v36, v75, v111
	v_mul_f32_e32 v113, 0x3f116cb1, v84
	v_add_f32_e32 v32, v32, v40
	v_add_f32_e32 v30, v36, v30
	;; [unrolled: 4-line block ×3, first 2 shown]
	v_add_f32_e32 v36, v77, v113
	v_mul_u32_u24_e32 v28, 26, v28
	v_mul_f32_e32 v84, 0x3df6dbef, v84
	v_add_f32_e32 v32, v32, v42
	v_add_f32_e32 v34, v36, v34
	;; [unrolled: 1-line block ×3, first 2 shown]
	v_or_b32_e32 v20, v28, v20
	v_add_f32_e32 v32, v32, v44
	v_add_f32_e32 v35, v36, v35
	;; [unrolled: 1-line block ×3, first 2 shown]
	v_lshl_add_u32 v20, v20, 2, 0
	v_add_f32_e32 v6, v36, v6
	ds_write2_b32 v20, v32, v29 offset1:2
	ds_write2_b32 v20, v30, v33 offset0:4 offset1:6
	ds_write2_b32 v20, v34, v35 offset0:8 offset1:10
	;; [unrolled: 1-line block ×5, first 2 shown]
	ds_write_b32 v20, v14 offset:96
.LBB0_29:
	s_or_b64 exec, exec, s[6:7]
	s_waitcnt lgkmcnt(0)
	s_barrier
	ds_read_b32 v6, v0
	ds_read_b32 v40, v0 offset:1144
	ds_read_b32 v39, v0 offset:2288
	ds_read_b32 v38, v0 offset:3432
	ds_read_b32 v37, v0 offset:4576
	ds_read_b32 v36, v0 offset:5720
	ds_read_b32 v34, v0 offset:6864
                                        ; implicit-def: $vgpr35
	s_and_saveexec_b64 s[6:7], s[2:3]
	s_cbranch_execz .LBB0_31
; %bb.30:
	ds_read_b32 v16, v0 offset:728
	ds_read_b32 v27, v0 offset:1872
	;; [unrolled: 1-line block ×7, first 2 shown]
.LBB0_31:
	s_or_b64 exec, exec, s[6:7]
	s_movk_i32 s6, 0x4f
	v_mul_lo_u16_sdwa v20, v43, s6 dst_sel:DWORD dst_unused:UNUSED_PAD src0_sel:BYTE_0 src1_sel:DWORD
	v_lshrrev_b16_e32 v73, 11, v20
	v_mul_lo_u16_e32 v20, 26, v73
	v_sub_u16_e32 v74, v43, v20
	v_mov_b32_e32 v20, 6
	v_mul_u32_u24_sdwa v20, v74, v20 dst_sel:DWORD dst_unused:UNUSED_PAD src0_sel:BYTE_0 src1_sel:DWORD
	s_movk_i32 s6, 0x4ec5
	v_lshlrev_b32_e32 v28, 3, v20
	v_mul_u32_u24_sdwa v20, v31, s6 dst_sel:DWORD dst_unused:UNUSED_PAD src0_sel:WORD_0 src1_sel:DWORD
	v_lshrrev_b32_e32 v20, 19, v20
	v_mul_lo_u16_e32 v29, 26, v20
	v_sub_u16_e32 v75, v31, v29
	global_load_dwordx4 v[49:52], v28, s[12:13] offset:192
	global_load_dwordx4 v[53:56], v28, s[12:13] offset:208
	;; [unrolled: 1-line block ×3, first 2 shown]
	v_mul_u32_u24_e32 v28, 6, v75
	v_lshlrev_b32_e32 v28, 3, v28
	global_load_dwordx4 v[61:64], v28, s[12:13] offset:192
	global_load_dwordx4 v[65:68], v28, s[12:13] offset:208
	;; [unrolled: 1-line block ×3, first 2 shown]
	s_mov_b32 s8, 0x3f5ff5aa
	s_mov_b32 s9, 0x3f3bfb3b
	;; [unrolled: 1-line block ×4, first 2 shown]
	s_waitcnt vmcnt(0) lgkmcnt(0)
	s_barrier
	v_mul_f32_e32 v48, v40, v50
	v_mul_f32_e32 v41, v25, v50
	;; [unrolled: 1-line block ×21, first 2 shown]
	v_fma_f32 v48, v25, v49, -v48
	v_fmac_f32_e32 v41, v40, v49
	v_fma_f32 v40, v24, v51, -v50
	v_fmac_f32_e32 v45, v37, v55
	v_fma_f32 v37, v18, v57, -v56
	v_fma_f32 v17, v17, v59, -v58
	v_mul_f32_e32 v32, v9, v70
	v_fmac_f32_e32 v42, v39, v51
	v_fma_f32 v39, v22, v53, -v52
	v_fmac_f32_e32 v44, v38, v53
	v_fma_f32 v38, v19, v55, -v54
	v_fma_f32 v22, v11, v65, -v64
	;; [unrolled: 1-line block ×3, first 2 shown]
	v_add_f32_e32 v9, v48, v17
	v_add_f32_e32 v11, v40, v37
	v_fmac_f32_e32 v46, v36, v57
	v_fma_f32 v18, v13, v61, -v60
	v_fmac_f32_e32 v31, v15, v67
	v_add_f32_e32 v13, v39, v38
	v_add_f32_e32 v15, v11, v9
	v_fmac_f32_e32 v47, v34, v59
	v_fma_f32 v19, v12, v63, -v62
	v_fmac_f32_e32 v32, v14, v69
	v_sub_f32_e32 v12, v42, v46
	v_sub_f32_e32 v14, v45, v44
	;; [unrolled: 1-line block ×5, first 2 shown]
	v_add_f32_e32 v13, v13, v15
	v_fmac_f32_e32 v28, v27, v61
	v_fmac_f32_e32 v29, v26, v63
	;; [unrolled: 1-line block ×3, first 2 shown]
	v_fma_f32 v21, v10, v67, -v66
	v_sub_f32_e32 v10, v41, v47
	v_add_f32_e32 v26, v14, v12
	v_sub_f32_e32 v27, v14, v12
	v_add_f32_e32 v8, v8, v13
	v_sub_f32_e32 v14, v10, v14
	v_sub_f32_e32 v12, v12, v10
	v_add_f32_e32 v10, v26, v10
	v_mul_f32_e32 v9, 0x3f4a47b2, v9
	v_mul_f32_e32 v15, 0x3d64c772, v11
	;; [unrolled: 1-line block ×3, first 2 shown]
	v_mov_b32_e32 v34, v8
	v_mul_f32_e32 v27, 0x3f5ff5aa, v12
	v_fma_f32 v15, v25, s9, -v15
	v_fmac_f32_e32 v34, 0xbf955555, v13
	v_fma_f32 v13, v25, s14, -v9
	v_fmac_f32_e32 v9, 0x3d64c772, v11
	;; [unrolled: 2-line block ×3, first 2 shown]
	v_fma_f32 v12, v14, s15, -v27
	v_add_f32_e32 v14, v15, v34
	v_fmac_f32_e32 v11, 0x3ee1c552, v10
	v_add_f32_e32 v13, v13, v34
	v_fmac_f32_e32 v12, 0x3ee1c552, v10
	v_sub_f32_e32 v25, v14, v11
	v_add_f32_e32 v11, v11, v14
	v_mov_b32_e32 v14, 2
	v_add_f32_e32 v9, v9, v34
	v_fmac_f32_e32 v26, 0x3ee1c552, v10
	v_add_f32_e32 v15, v12, v13
	v_sub_f32_e32 v12, v13, v12
	v_mul_u32_u24_e32 v13, 0x2d8, v73
	v_lshlrev_b32_sdwa v14, v14, v74 dst_sel:DWORD dst_unused:UNUSED_PAD src0_sel:DWORD src1_sel:BYTE_0
	v_mul_f32_e32 v70, v35, v72
	v_mul_f32_e32 v33, v23, v72
	v_add_f32_e32 v10, v26, v9
	v_sub_f32_e32 v9, v9, v26
	v_add3_u32 v26, 0, v13, v14
	v_fma_f32 v23, v23, v71, -v70
	v_fmac_f32_e32 v33, v35, v71
	ds_write2_b32 v26, v8, v10 offset1:26
	ds_write2_b32 v26, v15, v25 offset0:52 offset1:78
	ds_write2_b32 v26, v11, v12 offset0:104 offset1:130
	ds_write_b32 v26, v9 offset:624
	v_lshlrev_b32_e32 v25, 2, v75
	s_and_saveexec_b64 s[6:7], s[2:3]
	s_cbranch_execz .LBB0_33
; %bb.32:
	v_add_f32_e32 v8, v18, v23
	v_add_f32_e32 v9, v22, v21
	v_sub_f32_e32 v10, v8, v9
	v_mul_f32_e32 v10, 0x3f4a47b2, v10
	v_add_f32_e32 v11, v19, v24
	v_sub_f32_e32 v12, v9, v11
	v_mov_b32_e32 v14, v10
	v_mul_f32_e32 v13, 0x3d64c772, v12
	v_fmac_f32_e32 v14, 0x3d64c772, v12
	v_add_f32_e32 v12, v11, v8
	v_add_f32_e32 v9, v9, v12
	;; [unrolled: 1-line block ×3, first 2 shown]
	v_mov_b32_e32 v12, v7
	v_fmac_f32_e32 v12, 0xbf955555, v9
	v_sub_f32_e32 v15, v31, v30
	v_sub_f32_e32 v34, v29, v32
	v_add_f32_e32 v9, v14, v12
	v_sub_f32_e32 v14, v28, v33
	v_sub_f32_e32 v35, v15, v34
	;; [unrolled: 1-line block ×3, first 2 shown]
	v_mul_f32_e32 v35, 0xbf08b237, v35
	v_add_f32_e32 v15, v15, v34
	v_sub_f32_e32 v8, v11, v8
	v_sub_f32_e32 v11, v34, v14
	v_add_f32_e32 v15, v15, v14
	v_fma_f32 v10, v8, s14, -v10
	v_mul_f32_e32 v14, 0x3f5ff5aa, v11
	v_fma_f32 v11, v11, s8, -v35
	v_fma_f32 v8, v8, s9, -v13
	v_mov_b32_e32 v36, v35
	v_fmac_f32_e32 v11, 0x3ee1c552, v15
	v_add_f32_e32 v8, v8, v12
	v_fmac_f32_e32 v36, 0x3eae86e6, v27
	v_add_f32_e32 v10, v10, v12
	v_add_f32_e32 v12, v11, v8
	v_sub_f32_e32 v8, v8, v11
	v_mul_lo_u16_e32 v11, 0xb6, v20
	v_fmac_f32_e32 v36, 0x3ee1c552, v15
	v_fma_f32 v14, v27, s15, -v14
	v_lshlrev_b32_e32 v11, 2, v11
	v_sub_f32_e32 v49, v9, v36
	v_fmac_f32_e32 v14, 0x3ee1c552, v15
	v_add_f32_e32 v9, v36, v9
	v_add3_u32 v11, 0, v25, v11
	v_sub_f32_e32 v27, v10, v14
	v_add_f32_e32 v10, v14, v10
	ds_write2_b32 v11, v7, v9 offset1:26
	ds_write2_b32 v11, v10, v8 offset0:52 offset1:78
	ds_write2_b32 v11, v12, v27 offset0:104 offset1:130
	ds_write_b32 v11, v49 offset:624
.LBB0_33:
	s_or_b64 exec, exec, s[6:7]
	v_add_f32_e32 v7, v41, v47
	v_add_f32_e32 v9, v42, v46
	;; [unrolled: 1-line block ×4, first 2 shown]
	v_sub_f32_e32 v8, v48, v17
	v_sub_f32_e32 v10, v40, v37
	;; [unrolled: 1-line block ×6, first 2 shown]
	v_add_f32_e32 v11, v11, v13
	v_add_f32_e32 v15, v12, v10
	v_sub_f32_e32 v17, v12, v10
	v_sub_f32_e32 v10, v10, v8
	v_add_f32_e32 v27, v6, v11
	v_sub_f32_e32 v12, v8, v12
	v_add_f32_e32 v8, v15, v8
	v_mul_f32_e32 v6, 0x3f4a47b2, v7
	v_mul_f32_e32 v13, 0xbf08b237, v17
	;; [unrolled: 1-line block ×3, first 2 shown]
	v_mov_b32_e32 v17, v27
	v_mul_f32_e32 v7, 0x3d64c772, v9
	v_fmac_f32_e32 v17, 0xbf955555, v11
	v_fma_f32 v11, v14, s14, -v6
	v_fmac_f32_e32 v6, 0x3d64c772, v9
	v_fma_f32 v9, v10, s8, -v13
	;; [unrolled: 2-line block ×3, first 2 shown]
	v_add_f32_e32 v6, v6, v17
	v_fmac_f32_e32 v13, 0x3ee1c552, v8
	v_fmac_f32_e32 v9, 0x3ee1c552, v8
	;; [unrolled: 1-line block ×3, first 2 shown]
	v_add_u32_e32 v8, 0x500, v0
	v_fma_f32 v7, v14, s9, -v7
	v_add_f32_e32 v11, v11, v17
	v_sub_f32_e32 v34, v6, v13
	v_add_f32_e32 v39, v13, v6
	s_waitcnt lgkmcnt(0)
	s_barrier
	ds_read2_b32 v[12:13], v8 offset0:44 offset1:226
	v_add_u32_e32 v8, 0xb00, v0
	v_add_f32_e32 v7, v7, v17
	v_sub_f32_e32 v35, v11, v10
	v_add_f32_e32 v38, v10, v11
	ds_read2_b32 v[10:11], v8 offset0:24 offset1:206
	v_add_u32_e32 v8, 0x1000, v0
	v_add_u32_e32 v14, 0x1600, v0
	v_add_f32_e32 v36, v9, v7
	v_sub_f32_e32 v37, v7, v9
	ds_read2_b32 v[6:7], v0 offset1:182
	ds_read2_b32 v[8:9], v8 offset0:68 offset1:250
	ds_read2_b32 v[14:15], v14 offset0:48 offset1:230
	ds_read_b32 v17, v0 offset:7280
	s_waitcnt lgkmcnt(0)
	s_barrier
	ds_write2_b32 v26, v27, v34 offset1:26
	ds_write2_b32 v26, v35, v36 offset0:52 offset1:78
	ds_write2_b32 v26, v37, v38 offset0:104 offset1:130
	ds_write_b32 v26, v39 offset:624
	s_and_saveexec_b64 s[6:7], s[2:3]
	s_cbranch_execz .LBB0_35
; %bb.34:
	v_add_f32_e32 v26, v28, v33
	v_sub_f32_e32 v18, v18, v23
	v_add_f32_e32 v23, v29, v32
	v_sub_f32_e32 v19, v19, v24
	;; [unrolled: 2-line block ×3, first 2 shown]
	v_add_f32_e32 v22, v23, v26
	v_add_f32_e32 v22, v24, v22
	v_sub_f32_e32 v27, v23, v26
	v_sub_f32_e32 v26, v26, v24
	;; [unrolled: 1-line block ×3, first 2 shown]
	v_add_f32_e32 v16, v16, v22
	v_add_f32_e32 v28, v21, v19
	v_sub_f32_e32 v29, v21, v19
	v_mul_f32_e32 v24, 0x3f4a47b2, v26
	v_mul_f32_e32 v26, 0x3d64c772, v23
	v_mov_b32_e32 v30, v16
	s_mov_b32 s3, 0x3f3bfb3b
	v_sub_f32_e32 v21, v18, v21
	v_sub_f32_e32 v19, v19, v18
	v_add_f32_e32 v18, v28, v18
	v_mul_f32_e32 v28, 0xbf08b237, v29
	s_mov_b32 s2, 0x3f5ff5aa
	v_fmac_f32_e32 v30, 0xbf955555, v22
	v_fma_f32 v22, v27, s3, -v26
	s_mov_b32 s3, 0xbf3bfb3b
	v_mul_f32_e32 v29, 0x3f5ff5aa, v19
	v_fma_f32 v26, v27, s3, -v24
	v_fmac_f32_e32 v24, 0x3d64c772, v23
	v_fma_f32 v19, v19, s2, -v28
	v_fmac_f32_e32 v28, 0x3eae86e6, v21
	s_mov_b32 s2, 0xbeae86e6
	v_mul_lo_u16_e32 v20, 0xb6, v20
	v_fma_f32 v21, v21, s2, -v29
	v_add_f32_e32 v23, v24, v30
	v_fmac_f32_e32 v28, 0x3ee1c552, v18
	v_lshlrev_b32_e32 v20, 2, v20
	v_add_f32_e32 v22, v22, v30
	v_add_f32_e32 v24, v26, v30
	v_fmac_f32_e32 v19, 0x3ee1c552, v18
	v_fmac_f32_e32 v21, 0x3ee1c552, v18
	v_sub_f32_e32 v18, v23, v28
	v_add3_u32 v20, 0, v25, v20
	v_sub_f32_e32 v26, v24, v21
	v_add_f32_e32 v27, v19, v22
	v_sub_f32_e32 v19, v22, v19
	v_add_f32_e32 v21, v21, v24
	v_add_f32_e32 v22, v28, v23
	ds_write2_b32 v20, v16, v18 offset1:26
	ds_write2_b32 v20, v26, v27 offset0:52 offset1:78
	ds_write2_b32 v20, v19, v21 offset0:104 offset1:130
	ds_write_b32 v20, v22 offset:624
.LBB0_35:
	s_or_b64 exec, exec, s[6:7]
	s_waitcnt lgkmcnt(0)
	s_barrier
	s_and_saveexec_b64 s[2:3], s[0:1]
	s_cbranch_execz .LBB0_37
; %bb.36:
	v_mul_u32_u24_e32 v16, 10, v43
	v_lshlrev_b32_e32 v16, 3, v16
	global_load_dwordx4 v[18:21], v16, s[12:13] offset:1504
	global_load_dwordx4 v[22:25], v16, s[12:13] offset:1440
	;; [unrolled: 1-line block ×5, first 2 shown]
	v_mul_lo_u32 v16, s5, v4
	v_mul_lo_u32 v48, s4, v5
	v_mad_u64_u32 v[38:39], s[0:1], s4, v4, 0
	ds_read_b32 v49, v0 offset:7280
	ds_read2_b32 v[4:5], v0 offset1:182
	v_add_u32_e32 v40, 0x1600, v0
	v_add_u32_e32 v42, 0x500, v0
	;; [unrolled: 1-line block ×4, first 2 shown]
	ds_read2_b32 v[40:41], v40 offset0:48 offset1:230
	ds_read2_b32 v[42:43], v42 offset0:44 offset1:226
	;; [unrolled: 1-line block ×4, first 2 shown]
	v_add3_u32 v39, v39, v48, v16
	s_mov_b32 s5, 0xbf75a155
	s_mov_b32 s1, 0x3f575c64
	;; [unrolled: 1-line block ×5, first 2 shown]
	s_movk_i32 s0, 0x1000
	s_waitcnt vmcnt(4)
	v_mul_f32_e32 v0, v17, v21
	s_waitcnt vmcnt(3)
	v_mul_f32_e32 v48, v7, v23
	v_mul_f32_e32 v50, v15, v19
	;; [unrolled: 1-line block ×3, first 2 shown]
	s_waitcnt lgkmcnt(3)
	v_mul_f32_e32 v19, v41, v19
	v_fmac_f32_e32 v0, v49, v20
	v_fmac_f32_e32 v48, v5, v22
	v_mul_f32_e32 v16, v5, v23
	v_mul_f32_e32 v21, v49, v21
	s_waitcnt lgkmcnt(2)
	v_mul_f32_e32 v23, v42, v25
	s_waitcnt vmcnt(1)
	v_mul_f32_e32 v54, v10, v33
	s_waitcnt lgkmcnt(0)
	v_mul_f32_e32 v33, v46, v33
	s_waitcnt vmcnt(0)
	v_mul_f32_e32 v56, v11, v35
	v_mul_f32_e32 v35, v47, v35
	v_fmac_f32_e32 v50, v41, v18
	v_fmac_f32_e32 v51, v42, v24
	v_fma_f32 v42, v15, v18, -v19
	v_add_f32_e32 v15, v0, v48
	v_mul_f32_e32 v52, v14, v29
	v_mul_f32_e32 v53, v13, v31
	;; [unrolled: 1-line block ×3, first 2 shown]
	v_fma_f32 v5, v7, v22, -v16
	v_fma_f32 v49, v17, v20, -v21
	v_fmac_f32_e32 v54, v46, v32
	v_fma_f32 v32, v10, v32, -v33
	v_fma_f32 v33, v11, v34, -v35
	v_add_f32_e32 v16, v50, v51
	v_mul_f32_e32 v35, 0x3f575c64, v15
	v_mul_f32_e32 v29, v40, v29
	;; [unrolled: 1-line block ×4, first 2 shown]
	v_fma_f32 v41, v12, v24, -v23
	v_fmac_f32_e32 v52, v40, v28
	v_fmac_f32_e32 v53, v43, v30
	v_fma_f32 v30, v13, v30, -v25
	v_sub_f32_e32 v25, v5, v49
	v_mul_f32_e32 v40, 0x3ed4b147, v16
	v_mov_b32_e32 v7, v35
	v_mul_f32_e32 v55, v8, v37
	v_fmac_f32_e32 v31, v45, v26
	v_fma_f32 v27, v9, v26, -v27
	v_sub_f32_e32 v26, v41, v42
	v_add_f32_e32 v17, v52, v53
	v_mov_b32_e32 v9, v40
	v_fmac_f32_e32 v7, 0x3f0a6770, v25
	v_fma_f32 v29, v14, v28, -v29
	v_fmac_f32_e32 v55, v44, v36
	v_fmac_f32_e32 v56, v47, v34
	v_add_f32_e32 v18, v31, v54
	v_mul_f32_e32 v43, 0xbe11bafb, v17
	v_fmac_f32_e32 v9, 0x3f68dda4, v26
	v_add_f32_e32 v7, v4, v7
	v_sub_f32_e32 v28, v30, v29
	v_add_f32_e32 v19, v55, v56
	v_mul_f32_e32 v45, 0xbf27a4f4, v18
	v_mov_b32_e32 v10, v43
	v_add_f32_e32 v7, v7, v9
	v_mul_f32_e32 v9, v44, v37
	v_sub_f32_e32 v34, v32, v27
	v_mul_f32_e32 v46, 0xbf75a155, v19
	v_mov_b32_e32 v11, v45
	v_fmac_f32_e32 v10, 0x3f7d64f0, v28
	v_fma_f32 v36, v8, v36, -v9
	v_fmac_f32_e32 v11, 0x3f4178ce, v34
	v_add_f32_e32 v7, v7, v10
	v_sub_f32_e32 v37, v33, v36
	v_mov_b32_e32 v8, v46
	v_sub_f32_e32 v20, v48, v0
	v_add_f32_e32 v7, v7, v11
	v_fmac_f32_e32 v8, 0x3e903f40, v37
	v_mul_f32_e32 v47, 0xbf0a6770, v20
	v_sub_f32_e32 v21, v51, v50
	v_add_f32_e32 v8, v7, v8
	v_add_f32_e32 v44, v49, v5
	v_mov_b32_e32 v7, v47
	v_mul_f32_e32 v58, 0xbf68dda4, v21
	v_fmac_f32_e32 v7, 0x3f575c64, v44
	v_add_f32_e32 v57, v42, v41
	v_mov_b32_e32 v9, v58
	v_sub_f32_e32 v22, v53, v52
	v_add_f32_e32 v7, v6, v7
	v_fmac_f32_e32 v9, 0x3ed4b147, v57
	v_mul_f32_e32 v60, 0xbf7d64f0, v22
	v_add_f32_e32 v7, v7, v9
	v_add_f32_e32 v59, v29, v30
	v_mov_b32_e32 v9, v60
	v_sub_f32_e32 v23, v54, v31
	v_fmac_f32_e32 v9, 0xbe11bafb, v59
	v_mul_f32_e32 v62, 0xbf4178ce, v23
	v_add_f32_e32 v7, v7, v9
	v_add_f32_e32 v61, v27, v32
	v_mov_b32_e32 v9, v62
	v_sub_f32_e32 v24, v56, v55
	v_fmac_f32_e32 v9, 0xbf27a4f4, v61
	v_mul_f32_e32 v64, 0xbe903f40, v24
	v_add_f32_e32 v7, v7, v9
	v_add_f32_e32 v63, v36, v33
	v_mov_b32_e32 v9, v64
	v_fmac_f32_e32 v9, 0xbf75a155, v63
	v_mul_f32_e32 v65, 0x3ed4b147, v15
	v_add_f32_e32 v7, v7, v9
	v_mov_b32_e32 v9, v65
	v_mul_f32_e32 v66, 0xbf27a4f4, v16
	v_fmac_f32_e32 v9, 0x3f68dda4, v25
	v_mov_b32_e32 v10, v66
	v_add_f32_e32 v9, v4, v9
	v_fmac_f32_e32 v10, 0x3f4178ce, v26
	v_mul_f32_e32 v67, 0xbf75a155, v17
	v_add_f32_e32 v9, v9, v10
	v_mov_b32_e32 v10, v67
	v_fmac_f32_e32 v10, 0xbe903f40, v28
	v_mul_f32_e32 v68, 0xbe11bafb, v18
	v_add_f32_e32 v9, v9, v10
	v_mov_b32_e32 v10, v68
	v_fmac_f32_e32 v10, 0xbf7d64f0, v34
	v_mul_f32_e32 v69, 0x3f575c64, v19
	v_add_f32_e32 v9, v9, v10
	v_mov_b32_e32 v10, v69
	v_fmac_f32_e32 v10, 0xbf0a6770, v37
	v_mul_f32_e32 v70, 0xbf68dda4, v20
	v_add_f32_e32 v10, v9, v10
	v_mov_b32_e32 v9, v70
	v_mul_f32_e32 v71, 0xbf4178ce, v21
	v_fmac_f32_e32 v9, 0x3ed4b147, v44
	v_mov_b32_e32 v11, v71
	v_add_f32_e32 v9, v6, v9
	v_fmac_f32_e32 v11, 0xbf27a4f4, v57
	v_mul_f32_e32 v72, 0x3e903f40, v22
	v_add_f32_e32 v9, v9, v11
	v_mov_b32_e32 v11, v72
	v_fmac_f32_e32 v11, 0xbf75a155, v59
	v_mul_f32_e32 v73, 0x3f7d64f0, v23
	v_add_f32_e32 v9, v9, v11
	v_mov_b32_e32 v11, v73
	v_fmac_f32_e32 v11, 0xbe11bafb, v61
	v_mul_f32_e32 v74, 0x3f0a6770, v24
	;; [unrolled: 20-line block ×5, first 2 shown]
	v_add_f32_e32 v13, v13, v14
	v_mov_b32_e32 v14, v89
	v_fmac_f32_e32 v14, 0xbf68dda4, v37
	v_mul_f32_e32 v90, 0xbf4178ce, v20
	v_add_f32_e32 v14, v13, v14
	v_mov_b32_e32 v13, v90
	v_mul_f32_e32 v91, 0x3f7d64f0, v21
	v_fmac_f32_e32 v13, 0xbf27a4f4, v44
	v_mov_b32_e32 v92, v91
	v_add_f32_e32 v13, v6, v13
	v_fmac_f32_e32 v92, 0xbe11bafb, v57
	v_add_f32_e32 v13, v13, v92
	v_mul_f32_e32 v92, 0xbf0a6770, v22
	v_mov_b32_e32 v93, v92
	v_fmac_f32_e32 v93, 0x3f575c64, v59
	v_add_f32_e32 v13, v13, v93
	v_mul_f32_e32 v93, 0xbe903f40, v23
	v_mov_b32_e32 v94, v93
	v_fmac_f32_e32 v94, 0xbf75a155, v61
	v_add_f32_e32 v13, v13, v94
	v_mul_f32_e32 v94, 0x3f68dda4, v24
	v_mov_b32_e32 v95, v94
	v_fmac_f32_e32 v95, 0x3ed4b147, v63
	v_add_f32_e32 v13, v13, v95
	v_mul_f32_e32 v95, 0xbf75a155, v15
	v_mov_b32_e32 v15, v95
	v_mul_f32_e32 v96, 0x3f575c64, v16
	v_fmac_f32_e32 v15, 0x3e903f40, v25
	v_mov_b32_e32 v16, v96
	v_add_f32_e32 v15, v4, v15
	v_fmac_f32_e32 v16, 0xbf0a6770, v26
	v_mul_f32_e32 v17, 0xbf27a4f4, v17
	v_add_f32_e32 v15, v15, v16
	v_mov_b32_e32 v16, v17
	v_fmac_f32_e32 v95, 0xbe903f40, v25
	v_fmac_f32_e32 v16, 0x3f4178ce, v28
	v_mul_f32_e32 v18, 0x3ed4b147, v18
	v_add_f32_e32 v95, v4, v95
	v_fmac_f32_e32 v96, 0x3f0a6770, v26
	v_add_f32_e32 v15, v15, v16
	v_mov_b32_e32 v16, v18
	v_add_f32_e32 v95, v95, v96
	v_fmac_f32_e32 v17, 0xbf4178ce, v28
	v_fmac_f32_e32 v16, 0xbf68dda4, v34
	v_mul_f32_e32 v19, 0xbe11bafb, v19
	v_add_f32_e32 v17, v95, v17
	v_fmac_f32_e32 v18, 0x3f68dda4, v34
	v_add_f32_e32 v15, v15, v16
	v_mov_b32_e32 v16, v19
	v_mul_f32_e32 v20, 0xbe903f40, v20
	v_add_f32_e32 v17, v17, v18
	v_fmac_f32_e32 v19, 0xbf7d64f0, v37
	v_mul_f32_e32 v21, 0x3f0a6770, v21
	v_add_f32_e32 v18, v17, v19
	v_fma_f32 v17, v44, s5, -v20
	v_mul_f32_e32 v22, 0xbf4178ce, v22
	v_add_f32_e32 v17, v6, v17
	v_fma_f32 v19, v57, s1, -v21
	;; [unrolled: 3-line block ×4, first 2 shown]
	v_add_f32_e32 v17, v17, v19
	v_fma_f32 v19, v63, s3, -v24
	v_fmac_f32_e32 v85, 0xbf4178ce, v25
	v_add_f32_e32 v17, v17, v19
	v_add_f32_e32 v19, v4, v85
	v_fmac_f32_e32 v86, 0x3f7d64f0, v26
	v_add_f32_e32 v19, v19, v86
	v_fmac_f32_e32 v87, 0xbf0a6770, v28
	;; [unrolled: 2-line block ×3, first 2 shown]
	v_fmac_f32_e32 v16, 0x3f7d64f0, v37
	v_add_f32_e32 v19, v19, v88
	v_fmac_f32_e32 v89, 0x3f68dda4, v37
	v_add_f32_e32 v16, v15, v16
	v_mov_b32_e32 v15, v20
	v_add_f32_e32 v20, v19, v89
	v_fma_f32 v19, v44, s4, -v90
	v_mov_b32_e32 v97, v21
	v_add_f32_e32 v19, v6, v19
	v_fma_f32 v21, v57, s3, -v91
	v_add_f32_e32 v19, v19, v21
	v_fma_f32 v21, v59, s1, -v92
	;; [unrolled: 2-line block ×4, first 2 shown]
	v_fmac_f32_e32 v75, 0xbf7d64f0, v25
	v_add_f32_e32 v19, v19, v21
	v_add_f32_e32 v21, v4, v75
	v_fmac_f32_e32 v76, 0x3e903f40, v26
	v_fmac_f32_e32 v15, 0xbf75a155, v44
	v_add_f32_e32 v21, v21, v76
	v_fmac_f32_e32 v77, 0x3f68dda4, v28
	v_add_f32_e32 v15, v6, v15
	;; [unrolled: 2-line block ×4, first 2 shown]
	v_mov_b32_e32 v97, v22
	v_add_f32_e32 v21, v21, v78
	v_fmac_f32_e32 v79, 0xbf4178ce, v37
	v_fmac_f32_e32 v97, 0xbf27a4f4, v59
	v_add_f32_e32 v22, v21, v79
	v_fma_f32 v21, v44, s3, -v80
	v_add_f32_e32 v15, v15, v97
	v_mov_b32_e32 v97, v23
	v_add_f32_e32 v21, v6, v21
	v_fma_f32 v23, v57, s5, -v81
	v_add_f32_e32 v21, v21, v23
	v_fma_f32 v23, v59, s2, -v82
	;; [unrolled: 2-line block ×4, first 2 shown]
	v_fmac_f32_e32 v65, 0xbf68dda4, v25
	v_fmac_f32_e32 v35, 0xbf0a6770, v25
	v_add_f32_e32 v21, v21, v23
	v_add_f32_e32 v23, v4, v65
	;; [unrolled: 1-line block ×3, first 2 shown]
	v_fmac_f32_e32 v40, 0xbf68dda4, v26
	v_add_f32_e32 v4, v4, v48
	v_add_f32_e32 v25, v25, v40
	v_fmac_f32_e32 v43, 0xbf7d64f0, v28
	v_add_f32_e32 v4, v4, v51
	v_add_f32_e32 v25, v25, v43
	;; [unrolled: 3-line block ×3, first 2 shown]
	v_fmac_f32_e32 v46, 0xbe903f40, v37
	v_add_f32_e32 v4, v4, v54
	v_fmac_f32_e32 v66, 0xbf4178ce, v26
	v_add_f32_e32 v26, v25, v46
	v_fma_f32 v25, v44, s1, -v47
	v_add_f32_e32 v4, v4, v56
	v_fmac_f32_e32 v67, 0x3e903f40, v28
	v_add_f32_e32 v25, v6, v25
	v_fma_f32 v28, v57, s2, -v58
	v_add_f32_e32 v4, v55, v4
	v_add_f32_e32 v25, v25, v28
	v_fma_f32 v28, v59, s3, -v60
	v_add_f32_e32 v4, v31, v4
	;; [unrolled: 3-line block ×4, first 2 shown]
	v_add_f32_e32 v25, v25, v28
	v_add_f32_e32 v28, v0, v4
	;; [unrolled: 1-line block ×8, first 2 shown]
	v_fmac_f32_e32 v68, 0x3f7d64f0, v34
	v_add_f32_e32 v0, v0, v33
	v_fmac_f32_e32 v97, 0x3ed4b147, v61
	v_add_f32_e32 v23, v23, v68
	;; [unrolled: 2-line block ×3, first 2 shown]
	v_add_f32_e32 v15, v15, v97
	v_mov_b32_e32 v97, v24
	v_add_f32_e32 v24, v23, v69
	v_fma_f32 v23, v44, s2, -v70
	v_add_f32_e32 v0, v27, v0
	v_add_f32_e32 v23, v6, v23
	;; [unrolled: 1-line block ×3, first 2 shown]
	v_lshlrev_b64 v[5:6], 3, v[38:39]
	v_add_f32_e32 v0, v42, v0
	v_add_f32_e32 v27, v49, v0
	v_mov_b32_e32 v0, s11
	v_add_co_u32_e32 v5, vcc, s10, v5
	v_addc_co_u32_e32 v6, vcc, v0, v6, vcc
	v_lshlrev_b64 v[0:1], 3, v[1:2]
	v_mov_b32_e32 v4, 0
	v_add_co_u32_e32 v2, vcc, v5, v0
	v_addc_co_u32_e32 v5, vcc, v6, v1, vcc
	v_lshlrev_b64 v[0:1], 3, v[3:4]
	v_fma_f32 v65, v57, s4, -v71
	v_add_co_u32_e32 v0, vcc, v2, v0
	v_add_f32_e32 v23, v23, v65
	v_fma_f32 v65, v59, s5, -v72
	v_addc_co_u32_e32 v1, vcc, v5, v1, vcc
	v_add_f32_e32 v23, v23, v65
	v_fma_f32 v65, v61, s3, -v73
	v_add_co_u32_e32 v2, vcc, s0, v0
	v_add_f32_e32 v23, v23, v65
	v_fma_f32 v65, v63, s1, -v74
	v_addc_co_u32_e32 v3, vcc, 0, v1, vcc
	s_movk_i32 s0, 0x2000
	v_add_f32_e32 v23, v23, v65
	global_store_dwordx2 v[0:1], v[27:28], off
	global_store_dwordx2 v[0:1], v[25:26], off offset:1456
	global_store_dwordx2 v[0:1], v[23:24], off offset:2912
	;; [unrolled: 1-line block ×5, first 2 shown]
	v_add_co_u32_e32 v2, vcc, s0, v0
	v_addc_co_u32_e32 v3, vcc, 0, v1, vcc
	v_fmac_f32_e32 v97, 0xbe11bafb, v63
	v_add_co_u32_e32 v0, vcc, 0x3000, v0
	v_add_f32_e32 v15, v15, v97
	v_addc_co_u32_e32 v1, vcc, 0, v1, vcc
	global_store_dwordx2 v[2:3], v[15:16], off offset:544
	global_store_dwordx2 v[2:3], v[13:14], off offset:2000
	;; [unrolled: 1-line block ×5, first 2 shown]
.LBB0_37:
	s_endpgm
	.section	.rodata,"a",@progbits
	.p2align	6, 0x0
	.amdhsa_kernel fft_rtc_fwd_len2002_factors_2_13_7_11_wgs_182_tpt_182_halfLds_sp_op_CI_CI_unitstride_sbrr_dirReg
		.amdhsa_group_segment_fixed_size 0
		.amdhsa_private_segment_fixed_size 0
		.amdhsa_kernarg_size 104
		.amdhsa_user_sgpr_count 6
		.amdhsa_user_sgpr_private_segment_buffer 1
		.amdhsa_user_sgpr_dispatch_ptr 0
		.amdhsa_user_sgpr_queue_ptr 0
		.amdhsa_user_sgpr_kernarg_segment_ptr 1
		.amdhsa_user_sgpr_dispatch_id 0
		.amdhsa_user_sgpr_flat_scratch_init 0
		.amdhsa_user_sgpr_private_segment_size 0
		.amdhsa_uses_dynamic_stack 0
		.amdhsa_system_sgpr_private_segment_wavefront_offset 0
		.amdhsa_system_sgpr_workgroup_id_x 1
		.amdhsa_system_sgpr_workgroup_id_y 0
		.amdhsa_system_sgpr_workgroup_id_z 0
		.amdhsa_system_sgpr_workgroup_info 0
		.amdhsa_system_vgpr_workitem_id 0
		.amdhsa_next_free_vgpr 115
		.amdhsa_next_free_sgpr 28
		.amdhsa_reserve_vcc 1
		.amdhsa_reserve_flat_scratch 0
		.amdhsa_float_round_mode_32 0
		.amdhsa_float_round_mode_16_64 0
		.amdhsa_float_denorm_mode_32 3
		.amdhsa_float_denorm_mode_16_64 3
		.amdhsa_dx10_clamp 1
		.amdhsa_ieee_mode 1
		.amdhsa_fp16_overflow 0
		.amdhsa_exception_fp_ieee_invalid_op 0
		.amdhsa_exception_fp_denorm_src 0
		.amdhsa_exception_fp_ieee_div_zero 0
		.amdhsa_exception_fp_ieee_overflow 0
		.amdhsa_exception_fp_ieee_underflow 0
		.amdhsa_exception_fp_ieee_inexact 0
		.amdhsa_exception_int_div_zero 0
	.end_amdhsa_kernel
	.text
.Lfunc_end0:
	.size	fft_rtc_fwd_len2002_factors_2_13_7_11_wgs_182_tpt_182_halfLds_sp_op_CI_CI_unitstride_sbrr_dirReg, .Lfunc_end0-fft_rtc_fwd_len2002_factors_2_13_7_11_wgs_182_tpt_182_halfLds_sp_op_CI_CI_unitstride_sbrr_dirReg
                                        ; -- End function
	.section	.AMDGPU.csdata,"",@progbits
; Kernel info:
; codeLenInByte = 10100
; NumSgprs: 32
; NumVgprs: 115
; ScratchSize: 0
; MemoryBound: 0
; FloatMode: 240
; IeeeMode: 1
; LDSByteSize: 0 bytes/workgroup (compile time only)
; SGPRBlocks: 3
; VGPRBlocks: 28
; NumSGPRsForWavesPerEU: 32
; NumVGPRsForWavesPerEU: 115
; Occupancy: 2
; WaveLimiterHint : 1
; COMPUTE_PGM_RSRC2:SCRATCH_EN: 0
; COMPUTE_PGM_RSRC2:USER_SGPR: 6
; COMPUTE_PGM_RSRC2:TRAP_HANDLER: 0
; COMPUTE_PGM_RSRC2:TGID_X_EN: 1
; COMPUTE_PGM_RSRC2:TGID_Y_EN: 0
; COMPUTE_PGM_RSRC2:TGID_Z_EN: 0
; COMPUTE_PGM_RSRC2:TIDIG_COMP_CNT: 0
	.type	__hip_cuid_ffadbfde604e34c4,@object ; @__hip_cuid_ffadbfde604e34c4
	.section	.bss,"aw",@nobits
	.globl	__hip_cuid_ffadbfde604e34c4
__hip_cuid_ffadbfde604e34c4:
	.byte	0                               ; 0x0
	.size	__hip_cuid_ffadbfde604e34c4, 1

	.ident	"AMD clang version 19.0.0git (https://github.com/RadeonOpenCompute/llvm-project roc-6.4.0 25133 c7fe45cf4b819c5991fe208aaa96edf142730f1d)"
	.section	".note.GNU-stack","",@progbits
	.addrsig
	.addrsig_sym __hip_cuid_ffadbfde604e34c4
	.amdgpu_metadata
---
amdhsa.kernels:
  - .args:
      - .actual_access:  read_only
        .address_space:  global
        .offset:         0
        .size:           8
        .value_kind:     global_buffer
      - .offset:         8
        .size:           8
        .value_kind:     by_value
      - .actual_access:  read_only
        .address_space:  global
        .offset:         16
        .size:           8
        .value_kind:     global_buffer
      - .actual_access:  read_only
        .address_space:  global
        .offset:         24
        .size:           8
        .value_kind:     global_buffer
      - .actual_access:  read_only
        .address_space:  global
        .offset:         32
        .size:           8
        .value_kind:     global_buffer
      - .offset:         40
        .size:           8
        .value_kind:     by_value
      - .actual_access:  read_only
        .address_space:  global
        .offset:         48
        .size:           8
        .value_kind:     global_buffer
      - .actual_access:  read_only
        .address_space:  global
        .offset:         56
        .size:           8
        .value_kind:     global_buffer
      - .offset:         64
        .size:           4
        .value_kind:     by_value
      - .actual_access:  read_only
        .address_space:  global
        .offset:         72
        .size:           8
        .value_kind:     global_buffer
      - .actual_access:  read_only
        .address_space:  global
        .offset:         80
        .size:           8
        .value_kind:     global_buffer
      - .actual_access:  read_only
        .address_space:  global
        .offset:         88
        .size:           8
        .value_kind:     global_buffer
      - .actual_access:  write_only
        .address_space:  global
        .offset:         96
        .size:           8
        .value_kind:     global_buffer
    .group_segment_fixed_size: 0
    .kernarg_segment_align: 8
    .kernarg_segment_size: 104
    .language:       OpenCL C
    .language_version:
      - 2
      - 0
    .max_flat_workgroup_size: 182
    .name:           fft_rtc_fwd_len2002_factors_2_13_7_11_wgs_182_tpt_182_halfLds_sp_op_CI_CI_unitstride_sbrr_dirReg
    .private_segment_fixed_size: 0
    .sgpr_count:     32
    .sgpr_spill_count: 0
    .symbol:         fft_rtc_fwd_len2002_factors_2_13_7_11_wgs_182_tpt_182_halfLds_sp_op_CI_CI_unitstride_sbrr_dirReg.kd
    .uniform_work_group_size: 1
    .uses_dynamic_stack: false
    .vgpr_count:     115
    .vgpr_spill_count: 0
    .wavefront_size: 64
amdhsa.target:   amdgcn-amd-amdhsa--gfx906
amdhsa.version:
  - 1
  - 2
...

	.end_amdgpu_metadata
